;; amdgpu-corpus repo=ROCm/rocFFT kind=compiled arch=gfx906 opt=O3
	.text
	.amdgcn_target "amdgcn-amd-amdhsa--gfx906"
	.amdhsa_code_object_version 6
	.protected	fft_rtc_fwd_len3072_factors_6_4_4_4_4_2_wgs_256_tpt_256_halfLds_dp_op_CI_CI_unitstride_sbrr_R2C_dirReg ; -- Begin function fft_rtc_fwd_len3072_factors_6_4_4_4_4_2_wgs_256_tpt_256_halfLds_dp_op_CI_CI_unitstride_sbrr_R2C_dirReg
	.globl	fft_rtc_fwd_len3072_factors_6_4_4_4_4_2_wgs_256_tpt_256_halfLds_dp_op_CI_CI_unitstride_sbrr_R2C_dirReg
	.p2align	8
	.type	fft_rtc_fwd_len3072_factors_6_4_4_4_4_2_wgs_256_tpt_256_halfLds_dp_op_CI_CI_unitstride_sbrr_R2C_dirReg,@function
fft_rtc_fwd_len3072_factors_6_4_4_4_4_2_wgs_256_tpt_256_halfLds_dp_op_CI_CI_unitstride_sbrr_R2C_dirReg: ; @fft_rtc_fwd_len3072_factors_6_4_4_4_4_2_wgs_256_tpt_256_halfLds_dp_op_CI_CI_unitstride_sbrr_R2C_dirReg
; %bb.0:
	s_load_dwordx4 s[12:15], s[4:5], 0x0
	s_load_dwordx4 s[8:11], s[4:5], 0x58
	;; [unrolled: 1-line block ×3, first 2 shown]
	v_mov_b32_e32 v1, 0
	v_mov_b32_e32 v17, 0
	s_waitcnt lgkmcnt(0)
	v_cmp_lt_u64_e64 s[0:1], s[14:15], 2
	v_mov_b32_e32 v3, s6
	v_mov_b32_e32 v4, v1
	s_and_b64 vcc, exec, s[0:1]
	v_mov_b32_e32 v18, 0
	s_cbranch_vccnz .LBB0_8
; %bb.1:
	s_load_dwordx2 s[0:1], s[4:5], 0x10
	s_add_u32 s2, s18, 8
	s_addc_u32 s3, s19, 0
	s_add_u32 s6, s16, 8
	s_addc_u32 s7, s17, 0
	v_mov_b32_e32 v17, 0
	s_waitcnt lgkmcnt(0)
	s_add_u32 s20, s0, 8
	v_mov_b32_e32 v18, 0
	v_mov_b32_e32 v9, v17
	s_addc_u32 s21, s1, 0
	s_mov_b64 s[22:23], 1
	v_mov_b32_e32 v10, v18
.LBB0_2:                                ; =>This Inner Loop Header: Depth=1
	s_load_dwordx2 s[24:25], s[20:21], 0x0
                                        ; implicit-def: $vgpr11_vgpr12
	s_waitcnt lgkmcnt(0)
	v_or_b32_e32 v2, s25, v4
	v_cmp_ne_u64_e32 vcc, 0, v[1:2]
	s_and_saveexec_b64 s[0:1], vcc
	s_xor_b64 s[26:27], exec, s[0:1]
	s_cbranch_execz .LBB0_4
; %bb.3:                                ;   in Loop: Header=BB0_2 Depth=1
	v_cvt_f32_u32_e32 v2, s24
	v_cvt_f32_u32_e32 v5, s25
	s_sub_u32 s0, 0, s24
	s_subb_u32 s1, 0, s25
	v_mac_f32_e32 v2, 0x4f800000, v5
	v_rcp_f32_e32 v2, v2
	v_mul_f32_e32 v2, 0x5f7ffffc, v2
	v_mul_f32_e32 v5, 0x2f800000, v2
	v_trunc_f32_e32 v5, v5
	v_mac_f32_e32 v2, 0xcf800000, v5
	v_cvt_u32_f32_e32 v5, v5
	v_cvt_u32_f32_e32 v2, v2
	v_mul_lo_u32 v6, s0, v5
	v_mul_hi_u32 v7, s0, v2
	v_mul_lo_u32 v11, s1, v2
	v_mul_lo_u32 v8, s0, v2
	v_add_u32_e32 v6, v7, v6
	v_add_u32_e32 v6, v6, v11
	v_mul_hi_u32 v7, v2, v8
	v_mul_lo_u32 v11, v2, v6
	v_mul_hi_u32 v13, v2, v6
	v_mul_hi_u32 v12, v5, v8
	v_mul_lo_u32 v8, v5, v8
	v_mul_hi_u32 v14, v5, v6
	v_add_co_u32_e32 v7, vcc, v7, v11
	v_addc_co_u32_e32 v11, vcc, 0, v13, vcc
	v_mul_lo_u32 v6, v5, v6
	v_add_co_u32_e32 v7, vcc, v7, v8
	v_addc_co_u32_e32 v7, vcc, v11, v12, vcc
	v_addc_co_u32_e32 v8, vcc, 0, v14, vcc
	v_add_co_u32_e32 v6, vcc, v7, v6
	v_addc_co_u32_e32 v7, vcc, 0, v8, vcc
	v_add_co_u32_e32 v2, vcc, v2, v6
	v_addc_co_u32_e32 v5, vcc, v5, v7, vcc
	v_mul_lo_u32 v6, s0, v5
	v_mul_hi_u32 v7, s0, v2
	v_mul_lo_u32 v8, s1, v2
	v_mul_lo_u32 v11, s0, v2
	v_add_u32_e32 v6, v7, v6
	v_add_u32_e32 v6, v6, v8
	v_mul_lo_u32 v12, v2, v6
	v_mul_hi_u32 v13, v2, v11
	v_mul_hi_u32 v14, v2, v6
	;; [unrolled: 1-line block ×3, first 2 shown]
	v_mul_lo_u32 v11, v5, v11
	v_mul_hi_u32 v7, v5, v6
	v_add_co_u32_e32 v12, vcc, v13, v12
	v_addc_co_u32_e32 v13, vcc, 0, v14, vcc
	v_mul_lo_u32 v6, v5, v6
	v_add_co_u32_e32 v11, vcc, v12, v11
	v_addc_co_u32_e32 v8, vcc, v13, v8, vcc
	v_addc_co_u32_e32 v7, vcc, 0, v7, vcc
	v_add_co_u32_e32 v6, vcc, v8, v6
	v_addc_co_u32_e32 v7, vcc, 0, v7, vcc
	v_add_co_u32_e32 v2, vcc, v2, v6
	v_addc_co_u32_e32 v7, vcc, v5, v7, vcc
	v_mad_u64_u32 v[5:6], s[0:1], v3, v7, 0
	v_mul_hi_u32 v8, v3, v2
	v_add_co_u32_e32 v11, vcc, v8, v5
	v_addc_co_u32_e32 v12, vcc, 0, v6, vcc
	v_mad_u64_u32 v[5:6], s[0:1], v4, v2, 0
	v_mad_u64_u32 v[7:8], s[0:1], v4, v7, 0
	v_add_co_u32_e32 v2, vcc, v11, v5
	v_addc_co_u32_e32 v2, vcc, v12, v6, vcc
	v_addc_co_u32_e32 v5, vcc, 0, v8, vcc
	v_add_co_u32_e32 v2, vcc, v2, v7
	v_addc_co_u32_e32 v7, vcc, 0, v5, vcc
	v_mul_lo_u32 v8, s25, v2
	v_mul_lo_u32 v11, s24, v7
	v_mad_u64_u32 v[5:6], s[0:1], s24, v2, 0
	v_add3_u32 v6, v6, v11, v8
	v_sub_u32_e32 v8, v4, v6
	v_mov_b32_e32 v11, s25
	v_sub_co_u32_e32 v5, vcc, v3, v5
	v_subb_co_u32_e64 v8, s[0:1], v8, v11, vcc
	v_subrev_co_u32_e64 v11, s[0:1], s24, v5
	v_subbrev_co_u32_e64 v8, s[0:1], 0, v8, s[0:1]
	v_cmp_le_u32_e64 s[0:1], s25, v8
	v_cndmask_b32_e64 v12, 0, -1, s[0:1]
	v_cmp_le_u32_e64 s[0:1], s24, v11
	v_cndmask_b32_e64 v11, 0, -1, s[0:1]
	v_cmp_eq_u32_e64 s[0:1], s25, v8
	v_cndmask_b32_e64 v8, v12, v11, s[0:1]
	v_add_co_u32_e64 v11, s[0:1], 2, v2
	v_addc_co_u32_e64 v12, s[0:1], 0, v7, s[0:1]
	v_add_co_u32_e64 v13, s[0:1], 1, v2
	v_addc_co_u32_e64 v14, s[0:1], 0, v7, s[0:1]
	v_subb_co_u32_e32 v6, vcc, v4, v6, vcc
	v_cmp_ne_u32_e64 s[0:1], 0, v8
	v_cmp_le_u32_e32 vcc, s25, v6
	v_cndmask_b32_e64 v8, v14, v12, s[0:1]
	v_cndmask_b32_e64 v12, 0, -1, vcc
	v_cmp_le_u32_e32 vcc, s24, v5
	v_cndmask_b32_e64 v5, 0, -1, vcc
	v_cmp_eq_u32_e32 vcc, s25, v6
	v_cndmask_b32_e32 v5, v12, v5, vcc
	v_cmp_ne_u32_e32 vcc, 0, v5
	v_cndmask_b32_e64 v5, v13, v11, s[0:1]
	v_cndmask_b32_e32 v12, v7, v8, vcc
	v_cndmask_b32_e32 v11, v2, v5, vcc
.LBB0_4:                                ;   in Loop: Header=BB0_2 Depth=1
	s_andn2_saveexec_b64 s[0:1], s[26:27]
	s_cbranch_execz .LBB0_6
; %bb.5:                                ;   in Loop: Header=BB0_2 Depth=1
	v_cvt_f32_u32_e32 v2, s24
	s_sub_i32 s26, 0, s24
	v_mov_b32_e32 v12, v1
	v_rcp_iflag_f32_e32 v2, v2
	v_mul_f32_e32 v2, 0x4f7ffffe, v2
	v_cvt_u32_f32_e32 v2, v2
	v_mul_lo_u32 v5, s26, v2
	v_mul_hi_u32 v5, v2, v5
	v_add_u32_e32 v2, v2, v5
	v_mul_hi_u32 v2, v3, v2
	v_mul_lo_u32 v5, v2, s24
	v_add_u32_e32 v6, 1, v2
	v_sub_u32_e32 v5, v3, v5
	v_subrev_u32_e32 v7, s24, v5
	v_cmp_le_u32_e32 vcc, s24, v5
	v_cndmask_b32_e32 v5, v5, v7, vcc
	v_cndmask_b32_e32 v2, v2, v6, vcc
	v_add_u32_e32 v6, 1, v2
	v_cmp_le_u32_e32 vcc, s24, v5
	v_cndmask_b32_e32 v11, v2, v6, vcc
.LBB0_6:                                ;   in Loop: Header=BB0_2 Depth=1
	s_or_b64 exec, exec, s[0:1]
	v_mul_lo_u32 v2, v12, s24
	v_mul_lo_u32 v7, v11, s25
	v_mad_u64_u32 v[5:6], s[0:1], v11, s24, 0
	s_load_dwordx2 s[0:1], s[6:7], 0x0
	s_load_dwordx2 s[24:25], s[2:3], 0x0
	v_add3_u32 v2, v6, v7, v2
	v_sub_co_u32_e32 v3, vcc, v3, v5
	v_subb_co_u32_e32 v2, vcc, v4, v2, vcc
	s_waitcnt lgkmcnt(0)
	v_mul_lo_u32 v4, s0, v2
	v_mul_lo_u32 v5, s1, v3
	v_mad_u64_u32 v[17:18], s[0:1], s0, v3, v[17:18]
	v_mul_lo_u32 v2, s24, v2
	v_mul_lo_u32 v6, s25, v3
	v_mad_u64_u32 v[9:10], s[0:1], s24, v3, v[9:10]
	s_add_u32 s22, s22, 1
	s_addc_u32 s23, s23, 0
	s_add_u32 s2, s2, 8
	v_add3_u32 v10, v6, v10, v2
	s_addc_u32 s3, s3, 0
	v_mov_b32_e32 v2, s14
	s_add_u32 s6, s6, 8
	v_mov_b32_e32 v3, s15
	s_addc_u32 s7, s7, 0
	v_cmp_ge_u64_e32 vcc, s[22:23], v[2:3]
	s_add_u32 s20, s20, 8
	v_add3_u32 v18, v5, v18, v4
	s_addc_u32 s21, s21, 0
	s_cbranch_vccnz .LBB0_9
; %bb.7:                                ;   in Loop: Header=BB0_2 Depth=1
	v_mov_b32_e32 v3, v11
	v_mov_b32_e32 v4, v12
	s_branch .LBB0_2
.LBB0_8:
	v_mov_b32_e32 v9, v17
	v_mov_b32_e32 v12, v4
	;; [unrolled: 1-line block ×4, first 2 shown]
.LBB0_9:
	s_load_dwordx2 s[0:1], s[4:5], 0x28
	s_lshl_b64 s[6:7], s[14:15], 3
	s_add_u32 s2, s18, s6
	s_addc_u32 s3, s19, s7
                                        ; implicit-def: $vgpr13
                                        ; implicit-def: $vgpr6
                                        ; implicit-def: $vgpr15
                                        ; implicit-def: $vgpr2
                                        ; implicit-def: $vgpr4
	s_waitcnt lgkmcnt(0)
	v_cmp_gt_u64_e32 vcc, s[0:1], v[11:12]
	v_cmp_le_u64_e64 s[0:1], s[0:1], v[11:12]
	s_and_saveexec_b64 s[4:5], s[0:1]
	s_xor_b64 s[0:1], exec, s[4:5]
; %bb.10:
	v_mov_b32_e32 v1, 0
	v_or_b32_e32 v13, 0x100, v0
	v_or_b32_e32 v6, 0x300, v0
	v_or_b32_e32 v15, 0x200, v0
	v_or_b32_e32 v2, 0x400, v0
	v_or_b32_e32 v4, 0x500, v0
	v_mov_b32_e32 v14, v1
	v_mov_b32_e32 v16, v1
	;; [unrolled: 1-line block ×5, first 2 shown]
                                        ; implicit-def: $vgpr17_vgpr18
; %bb.11:
	s_andn2_saveexec_b64 s[4:5], s[0:1]
	s_cbranch_execz .LBB0_13
; %bb.12:
	s_add_u32 s0, s16, s6
	s_addc_u32 s1, s17, s7
	s_load_dwordx2 s[0:1], s[0:1], 0x0
	v_mov_b32_e32 v7, s9
	v_lshlrev_b64 v[3:4], 4, v[17:18]
	v_lshlrev_b32_e32 v65, 4, v0
	v_or_b32_e32 v66, 0x7000, v65
	s_waitcnt lgkmcnt(0)
	v_mul_lo_u32 v5, s1, v11
	v_mul_lo_u32 v6, s0, v12
	v_mad_u64_u32 v[1:2], s[0:1], s0, v11, 0
	v_or_b32_e32 v13, 0x100, v0
	v_lshlrev_b32_e32 v14, 4, v13
	v_add3_u32 v2, v2, v6, v5
	v_lshlrev_b64 v[1:2], 4, v[1:2]
	v_or_b32_e32 v6, 0x300, v0
	v_add_co_u32_e64 v1, s[0:1], s8, v1
	v_addc_co_u32_e64 v2, s[0:1], v7, v2, s[0:1]
	v_add_co_u32_e64 v5, s[0:1], v1, v3
	v_addc_co_u32_e64 v60, s[0:1], v2, v4, s[0:1]
	v_lshlrev_b32_e32 v64, 4, v6
	v_add_co_u32_e64 v1, s[0:1], v5, v64
	v_addc_co_u32_e64 v2, s[0:1], 0, v60, s[0:1]
	v_add_co_u32_e64 v7, s[0:1], v5, v66
	v_addc_co_u32_e64 v8, s[0:1], 0, v60, s[0:1]
	;; [unrolled: 2-line block ×4, first 2 shown]
	global_load_dwordx4 v[16:19], v[3:4], off
	global_load_dwordx4 v[20:23], v[14:15], off
	v_or_b32_e32 v15, 0x200, v0
	v_lshlrev_b32_e32 v3, 4, v15
	v_add_co_u32_e64 v3, s[0:1], v5, v3
	v_addc_co_u32_e64 v4, s[0:1], 0, v60, s[0:1]
	global_load_dwordx4 v[24:27], v[1:2], off
	global_load_dwordx4 v[28:31], v[3:4], off
	v_or_b32_e32 v2, 0x400, v0
	v_lshlrev_b32_e32 v1, 4, v2
	v_or_b32_e32 v4, 0x500, v0
	v_add_co_u32_e64 v40, s[0:1], v5, v1
	v_addc_co_u32_e64 v41, s[0:1], 0, v60, s[0:1]
	v_lshlrev_b32_e32 v1, 4, v4
	v_add_co_u32_e64 v42, s[0:1], v5, v1
	v_addc_co_u32_e64 v43, s[0:1], 0, v60, s[0:1]
	v_or_b32_e32 v1, 0x6000, v65
	v_add_co_u32_e64 v48, s[0:1], v5, v1
	v_addc_co_u32_e64 v49, s[0:1], 0, v60, s[0:1]
	v_or_b32_e32 v1, 0x8000, v65
	global_load_dwordx4 v[32:35], v[40:41], off
	global_load_dwordx4 v[36:39], v[42:43], off
	s_nop 0
	global_load_dwordx4 v[40:43], v[7:8], off
	global_load_dwordx4 v[44:47], v[48:49], off
	v_add_co_u32_e64 v7, s[0:1], v5, v1
	v_addc_co_u32_e64 v8, s[0:1], 0, v60, s[0:1]
	v_or_b32_e32 v1, 0x9000, v65
	v_add_co_u32_e64 v56, s[0:1], v5, v1
	v_addc_co_u32_e64 v57, s[0:1], 0, v60, s[0:1]
	v_or_b32_e32 v1, 0xa000, v65
	global_load_dwordx4 v[48:51], v[7:8], off
	global_load_dwordx4 v[52:55], v[56:57], off
	v_add_co_u32_e64 v7, s[0:1], v5, v1
	v_addc_co_u32_e64 v8, s[0:1], 0, v60, s[0:1]
	v_or_b32_e32 v67, 0xb000, v65
	global_load_dwordx4 v[56:59], v[7:8], off
	v_add_co_u32_e64 v7, s[0:1], v5, v67
	v_addc_co_u32_e64 v8, s[0:1], 0, v60, s[0:1]
	global_load_dwordx4 v[60:63], v[7:8], off
	v_add_u32_e32 v1, 0, v64
	v_add_u32_e32 v8, 0, v67
	s_waitcnt vmcnt(9)
	ds_write_b128 v1, v[24:27]
	v_add_u32_e32 v1, 0, v66
	s_waitcnt vmcnt(5)
	ds_write_b128 v1, v[40:43]
	v_add_u32_e32 v1, 0, v65
	ds_write_b128 v1, v[16:19]
	ds_write_b128 v1, v[20:23] offset:4096
	ds_write_b128 v1, v[28:31] offset:8192
	;; [unrolled: 1-line block ×4, first 2 shown]
	s_waitcnt vmcnt(4)
	ds_write_b128 v1, v[44:47] offset:24576
	s_waitcnt vmcnt(3)
	ds_write_b128 v1, v[48:51] offset:32768
	;; [unrolled: 2-line block ×4, first 2 shown]
	v_mov_b32_e32 v1, 0
	v_mov_b32_e32 v14, v1
	;; [unrolled: 1-line block ×6, first 2 shown]
	s_waitcnt vmcnt(0)
	ds_write_b128 v8, v[60:63]
.LBB0_13:
	s_or_b64 exec, exec, s[4:5]
	v_lshlrev_b32_e32 v26, 4, v0
	v_add_u32_e32 v30, 0, v26
	s_load_dwordx2 s[2:3], s[2:3], 0x0
	s_waitcnt lgkmcnt(0)
	s_barrier
	ds_read_b128 v[17:20], v30 offset:16384
	ds_read_b128 v[21:24], v30
	ds_read_b128 v[31:34], v30 offset:32768
	ds_read_b128 v[35:38], v30 offset:24576
	;; [unrolled: 1-line block ×3, first 2 shown]
	s_mov_b32 s0, 0xe8584caa
	s_mov_b32 s1, 0x3febb67a
	s_waitcnt lgkmcnt(3)
	v_add_f64 v[27:28], v[21:22], v[17:18]
	v_add_f64 v[43:44], v[23:24], v[19:20]
	s_waitcnt lgkmcnt(0)
	v_add_f64 v[53:54], v[35:36], v[39:40]
	v_add_f64 v[45:46], v[17:18], v[31:32]
	v_add_f64 v[47:48], v[19:20], -v[33:34]
	v_add_f64 v[49:50], v[19:20], v[33:34]
	v_add_f64 v[55:56], v[17:18], -v[31:32]
	ds_read_b128 v[17:20], v30 offset:8192
	v_add_f64 v[51:52], v[37:38], v[41:42]
	v_add_f64 v[27:28], v[27:28], v[31:32]
	v_add_f64 v[31:32], v[37:38], -v[41:42]
	v_add_f64 v[43:44], v[43:44], v[33:34]
	s_waitcnt lgkmcnt(0)
	v_fma_f64 v[53:54], v[53:54], -0.5, v[17:18]
	v_add_f64 v[33:34], v[35:36], -v[39:40]
	s_mov_b32 s5, 0xbfebb67a
	s_mov_b32 s4, s0
	v_fma_f64 v[51:52], v[51:52], -0.5, v[19:20]
	v_add_f64 v[19:20], v[19:20], v[37:38]
	v_add_f64 v[17:18], v[17:18], v[35:36]
	v_fma_f64 v[45:46], v[45:46], -0.5, v[21:22]
	v_fma_f64 v[37:38], v[31:32], s[0:1], v[53:54]
	v_fma_f64 v[53:54], v[31:32], s[4:5], v[53:54]
	v_fma_f64 v[49:50], v[49:50], -0.5, v[23:24]
	ds_read_b128 v[21:24], v30 offset:20480
	v_fma_f64 v[35:36], v[33:34], s[4:5], v[51:52]
	v_fma_f64 v[33:34], v[33:34], s[0:1], v[51:52]
	v_add_f64 v[39:40], v[17:18], v[39:40]
	v_add_f64 v[41:42], v[19:20], v[41:42]
	v_mul_f64 v[57:58], v[37:38], s[4:5]
	v_mul_f64 v[51:52], v[53:54], -0.5
	v_fma_f64 v[61:62], v[47:48], s[0:1], v[45:46]
	v_fma_f64 v[63:64], v[47:48], s[4:5], v[45:46]
	v_mul_f64 v[31:32], v[35:36], s[0:1]
	v_fma_f64 v[45:46], v[55:56], s[4:5], v[49:50]
	v_fma_f64 v[55:56], v[55:56], s[0:1], v[49:50]
	ds_read_b128 v[17:20], v30 offset:4096
	v_fma_f64 v[57:58], v[35:36], 0.5, v[57:58]
	v_mul_f64 v[35:36], v[33:34], -0.5
	v_fma_f64 v[51:52], v[33:34], s[0:1], v[51:52]
	v_add_f64 v[33:34], v[43:44], v[41:42]
	v_fma_f64 v[59:60], v[37:38], 0.5, v[31:32]
	v_add_f64 v[31:32], v[27:28], v[39:40]
	v_add_f64 v[37:38], v[43:44], -v[41:42]
	s_movk_i32 s6, 0x50
	v_add_f64 v[41:42], v[45:46], v[57:58]
	v_fma_f64 v[53:54], v[53:54], s[4:5], v[35:36]
	v_add_f64 v[35:36], v[27:28], -v[39:40]
	v_add_f64 v[47:48], v[63:64], v[51:52]
	v_add_f64 v[39:40], v[61:62], v[59:60]
	v_add_f64 v[43:44], v[61:62], -v[59:60]
	v_add_f64 v[45:46], v[45:46], -v[57:58]
	;; [unrolled: 1-line block ×3, first 2 shown]
	v_mad_u32_u24 v8, v0, s6, v30
	v_add_f64 v[49:50], v[55:56], v[53:54]
	v_add_f64 v[53:54], v[55:56], -v[53:54]
	ds_read_b128 v[55:58], v30 offset:36864
	ds_read_b128 v[59:62], v30 offset:12288
	;; [unrolled: 1-line block ×4, first 2 shown]
	s_waitcnt lgkmcnt(0)
	s_barrier
	ds_write_b128 v8, v[31:34]
	ds_write_b128 v8, v[39:42] offset:16
	ds_write_b128 v8, v[47:50] offset:32
	;; [unrolled: 1-line block ×5, first 2 shown]
	v_add_f64 v[37:38], v[65:66], v[69:70]
	v_add_f64 v[39:40], v[63:64], v[67:68]
	v_add_f64 v[41:42], v[65:66], -v[69:70]
	v_add_f64 v[43:44], v[63:64], -v[67:68]
	v_add_f64 v[31:32], v[19:20], v[23:24]
	v_add_f64 v[33:34], v[21:22], v[55:56]
	v_add_f64 v[35:36], v[23:24], -v[57:58]
	v_add_f64 v[23:24], v[23:24], v[57:58]
	v_fma_f64 v[37:38], v[37:38], -0.5, v[61:62]
	v_fma_f64 v[39:40], v[39:40], -0.5, v[59:60]
	v_add_f64 v[47:48], v[61:62], v[65:66]
	v_add_f64 v[27:28], v[17:18], v[21:22]
	;; [unrolled: 1-line block ×3, first 2 shown]
	v_add_f64 v[21:22], v[21:22], -v[55:56]
	v_fma_f64 v[33:34], v[33:34], -0.5, v[17:18]
	v_fma_f64 v[19:20], v[23:24], -0.5, v[19:20]
	v_fma_f64 v[49:50], v[43:44], s[4:5], v[37:38]
	v_fma_f64 v[51:52], v[41:42], s[0:1], v[39:40]
	;; [unrolled: 1-line block ×4, first 2 shown]
	v_add_f64 v[23:24], v[47:48], v[69:70]
	v_add_f64 v[27:28], v[27:28], v[55:56]
	;; [unrolled: 1-line block ×4, first 2 shown]
	v_mul_f64 v[41:42], v[49:50], s[0:1]
	v_mul_f64 v[43:44], v[51:52], s[4:5]
	v_mul_f64 v[47:48], v[39:40], -0.5
	v_mul_f64 v[53:54], v[37:38], -0.5
	v_fma_f64 v[55:56], v[35:36], s[4:5], v[33:34]
	v_fma_f64 v[57:58], v[21:22], s[0:1], v[19:20]
	v_mul_i32_i24_e32 v8, 6, v13
	v_add_f64 v[17:18], v[27:28], v[45:46]
	v_fma_f64 v[41:42], v[51:52], 0.5, v[41:42]
	v_fma_f64 v[49:50], v[49:50], 0.5, v[43:44]
	v_fma_f64 v[43:44], v[35:36], s[0:1], v[33:34]
	v_fma_f64 v[51:52], v[21:22], s[4:5], v[19:20]
	;; [unrolled: 1-line block ×4, first 2 shown]
	v_add_f64 v[19:20], v[31:32], v[23:24]
	v_add_f64 v[23:24], v[31:32], -v[23:24]
	v_add_f64 v[21:22], v[27:28], -v[45:46]
	v_lshl_add_u32 v31, v8, 4, 0
	v_add_f64 v[32:33], v[43:44], v[41:42]
	v_add_f64 v[34:35], v[51:52], v[49:50]
	v_add_f64 v[36:37], v[43:44], -v[41:42]
	v_add_f64 v[40:41], v[55:56], v[47:48]
	v_add_f64 v[42:43], v[57:58], v[53:54]
	v_add_f64 v[38:39], v[51:52], -v[49:50]
	v_add_f64 v[44:45], v[55:56], -v[47:48]
	;; [unrolled: 1-line block ×3, first 2 shown]
	ds_write_b128 v31, v[17:20]
	ds_write_b128 v31, v[32:35] offset:16
	ds_write_b128 v31, v[40:43] offset:32
	;; [unrolled: 1-line block ×5, first 2 shown]
	v_mul_lo_u16_e32 v17, 0xab, v0
	v_lshrrev_b16_e32 v8, 10, v17
	v_mul_lo_u16_e32 v18, 6, v8
	v_sub_u16_e32 v29, v0, v18
	v_mov_b32_e32 v18, 3
	v_mul_u32_u24_sdwa v19, v29, v18 dst_sel:DWORD dst_unused:UNUSED_PAD src0_sel:BYTE_0 src1_sel:DWORD
	v_lshlrev_b32_e32 v19, 4, v19
	s_waitcnt lgkmcnt(0)
	s_barrier
	global_load_dwordx4 v[20:23], v19, s[12:13]
	global_load_dwordx4 v[33:36], v19, s[12:13] offset:16
	global_load_dwordx4 v[37:40], v19, s[12:13] offset:32
	s_mov_b32 s0, 0xaaab
	v_mul_u32_u24_sdwa v19, v13, s0 dst_sel:DWORD dst_unused:UNUSED_PAD src0_sel:WORD_0 src1_sel:DWORD
	v_lshrrev_b32_e32 v81, 18, v19
	v_mul_lo_u16_e32 v24, 6, v81
	v_sub_u16_e32 v82, v13, v24
	v_mul_lo_u16_e32 v24, 3, v82
	v_lshlrev_b32_e32 v63, 4, v24
	global_load_dwordx4 v[41:44], v63, s[12:13]
	global_load_dwordx4 v[45:48], v63, s[12:13] offset:16
	v_lshl_add_u32 v32, v6, 4, 0
	ds_read_b128 v[49:52], v32
	v_mul_u32_u24_e32 v8, 24, v8
	s_movk_i32 s4, 0x1000
	s_movk_i32 s5, 0x17a0
	s_add_u32 s6, s12, 0xbfa0
	s_addc_u32 s7, s13, 0
	s_waitcnt vmcnt(4) lgkmcnt(0)
	v_mul_f64 v[24:25], v[51:52], v[22:23]
	v_mul_f64 v[22:23], v[49:50], v[22:23]
	v_fma_f64 v[27:28], v[49:50], v[20:21], -v[24:25]
	v_fma_f64 v[49:50], v[51:52], v[20:21], v[22:23]
	ds_read_b128 v[20:23], v30 offset:24576
	s_waitcnt vmcnt(3) lgkmcnt(0)
	v_mul_f64 v[24:25], v[22:23], v[35:36]
	v_mul_f64 v[35:36], v[20:21], v[35:36]
	v_fma_f64 v[51:52], v[20:21], v[33:34], -v[24:25]
	v_fma_f64 v[53:54], v[22:23], v[33:34], v[35:36]
	ds_read_b128 v[20:23], v30 offset:36864
	;; [unrolled: 6-line block ×3, first 2 shown]
	s_waitcnt vmcnt(1) lgkmcnt(0)
	v_mul_f64 v[24:25], v[22:23], v[43:44]
	v_mul_f64 v[33:34], v[20:21], v[43:44]
	v_add_f64 v[79:80], v[49:50], -v[37:38]
	v_fma_f64 v[55:56], v[20:21], v[41:42], -v[24:25]
	v_fma_f64 v[57:58], v[22:23], v[41:42], v[33:34]
	ds_read_b128 v[20:23], v30 offset:28672
	s_waitcnt vmcnt(0) lgkmcnt(0)
	v_mul_f64 v[24:25], v[22:23], v[47:48]
	v_mul_f64 v[33:34], v[20:21], v[47:48]
	v_fma_f64 v[59:60], v[20:21], v[45:46], -v[24:25]
	v_fma_f64 v[61:62], v[22:23], v[45:46], v[33:34]
	global_load_dwordx4 v[20:23], v63, s[12:13] offset:32
	ds_read_b128 v[33:36], v30 offset:40960
	s_waitcnt vmcnt(0) lgkmcnt(0)
	v_mul_f64 v[24:25], v[35:36], v[22:23]
	v_mul_f64 v[22:23], v[33:34], v[22:23]
	v_fma_f64 v[63:64], v[33:34], v[20:21], -v[24:25]
	v_fma_f64 v[65:66], v[35:36], v[20:21], v[22:23]
	v_mul_u32_u24_sdwa v20, v15, s0 dst_sel:DWORD dst_unused:UNUSED_PAD src0_sel:WORD_0 src1_sel:DWORD
	v_lshrrev_b32_e32 v25, 18, v20
	v_mul_lo_u16_e32 v21, 6, v25
	v_sub_u16_e32 v83, v15, v21
	v_mul_lo_u16_e32 v21, 3, v83
	v_lshlrev_b32_e32 v43, 4, v21
	global_load_dwordx4 v[21:24], v43, s[12:13]
	ds_read_b128 v[33:36], v30 offset:20480
	s_movk_i32 s0, 0xffb0
	s_waitcnt vmcnt(0) lgkmcnt(0)
	v_mul_f64 v[41:42], v[35:36], v[23:24]
	v_mul_f64 v[23:24], v[33:34], v[23:24]
	v_fma_f64 v[67:68], v[33:34], v[21:22], -v[41:42]
	v_fma_f64 v[69:70], v[35:36], v[21:22], v[23:24]
	global_load_dwordx4 v[21:24], v43, s[12:13] offset:16
	ds_read_b128 v[33:36], v30 offset:32768
	s_waitcnt vmcnt(0) lgkmcnt(0)
	v_mul_f64 v[41:42], v[35:36], v[23:24]
	v_mul_f64 v[23:24], v[33:34], v[23:24]
	v_fma_f64 v[71:72], v[33:34], v[21:22], -v[41:42]
	v_fma_f64 v[73:74], v[35:36], v[21:22], v[23:24]
	global_load_dwordx4 v[21:24], v43, s[12:13] offset:32
	ds_read_b128 v[33:36], v30 offset:45056
	s_waitcnt vmcnt(0) lgkmcnt(0)
	v_mul_f64 v[41:42], v[35:36], v[23:24]
	v_mul_f64 v[23:24], v[33:34], v[23:24]
	v_fma_f64 v[75:76], v[33:34], v[21:22], -v[41:42]
	v_fma_f64 v[77:78], v[35:36], v[21:22], v[23:24]
	ds_read_b128 v[21:24], v30
	s_waitcnt lgkmcnt(0)
	v_add_f64 v[46:47], v[21:22], -v[51:52]
	v_add_f64 v[51:52], v[23:24], -v[53:54]
	;; [unrolled: 1-line block ×3, first 2 shown]
	v_fma_f64 v[33:34], v[21:22], 2.0, -v[46:47]
	v_fma_f64 v[41:42], v[23:24], 2.0, -v[51:52]
	;; [unrolled: 1-line block ×4, first 2 shown]
	v_or_b32_sdwa v27, v8, v29 dst_sel:DWORD dst_unused:UNUSED_PAD src0_sel:DWORD src1_sel:BYTE_0
	v_mad_i32_i24 v8, v13, s0, v31
	v_lshl_add_u32 v27, v27, 4, 0
	v_mul_lo_u16_e32 v29, 24, v81
	v_or_b32_e32 v29, v29, v82
	v_and_b32_e32 v29, 0xffff, v29
	v_add_f64 v[21:22], v[33:34], -v[21:22]
	v_add_f64 v[23:24], v[41:42], -v[23:24]
	v_lshl_add_u32 v29, v29, 4, 0
	v_lshrrev_b32_e32 v82, 20, v20
	v_fma_f64 v[34:35], v[33:34], 2.0, -v[21:22]
	v_fma_f64 v[36:37], v[41:42], 2.0, -v[23:24]
	v_lshl_add_u32 v33, v15, 4, 0
	ds_read_b128 v[38:41], v8
	ds_read_b128 v[42:45], v33
	s_waitcnt lgkmcnt(0)
	s_barrier
	ds_write_b128 v27, v[34:37]
	v_add_f64 v[34:35], v[46:47], -v[79:80]
	v_add_f64 v[36:37], v[51:52], v[53:54]
	v_lshrrev_b32_e32 v80, 20, v19
	v_fma_f64 v[46:47], v[46:47], 2.0, -v[34:35]
	v_fma_f64 v[48:49], v[51:52], 2.0, -v[36:37]
	ds_write_b128 v27, v[46:49] offset:96
	ds_write_b128 v27, v[21:24] offset:192
	;; [unrolled: 1-line block ×3, first 2 shown]
	v_add_f64 v[27:28], v[38:39], -v[59:60]
	v_add_f64 v[46:47], v[40:41], -v[61:62]
	;; [unrolled: 1-line block ×4, first 2 shown]
	v_fma_f64 v[34:35], v[38:39], 2.0, -v[27:28]
	v_fma_f64 v[36:37], v[40:41], 2.0, -v[46:47]
	v_add_f64 v[38:39], v[55:56], -v[63:64]
	v_add_f64 v[40:41], v[57:58], -v[65:66]
	v_fma_f64 v[21:22], v[55:56], 2.0, -v[38:39]
	v_fma_f64 v[23:24], v[57:58], 2.0, -v[40:41]
	;; [unrolled: 1-line block ×3, first 2 shown]
	v_add_f64 v[21:22], v[34:35], -v[21:22]
	v_add_f64 v[23:24], v[36:37], -v[23:24]
	v_fma_f64 v[34:35], v[34:35], 2.0, -v[21:22]
	v_fma_f64 v[36:37], v[36:37], 2.0, -v[23:24]
	ds_write_b128 v29, v[34:37]
	v_add_f64 v[34:35], v[27:28], -v[40:41]
	v_add_f64 v[36:37], v[46:47], v[38:39]
	v_fma_f64 v[38:39], v[27:28], 2.0, -v[34:35]
	v_fma_f64 v[40:41], v[46:47], 2.0, -v[36:37]
	v_add_f64 v[27:28], v[42:43], -v[71:72]
	v_add_f64 v[46:47], v[69:70], -v[77:78]
	ds_write_b128 v29, v[38:41] offset:96
	v_fma_f64 v[50:51], v[42:43], 2.0, -v[27:28]
	v_fma_f64 v[42:43], v[67:68], 2.0, -v[48:49]
	;; [unrolled: 1-line block ×3, first 2 shown]
	v_add_f64 v[46:47], v[27:28], -v[46:47]
	v_add_f64 v[48:49], v[52:53], v[48:49]
	ds_write_b128 v29, v[21:24] offset:192
	ds_write_b128 v29, v[34:37] offset:288
	v_mul_lo_u16_e32 v21, 24, v25
	v_or_b32_e32 v21, v21, v83
	v_and_b32_e32 v21, 0xffff, v21
	v_add_f64 v[42:43], v[50:51], -v[42:43]
	v_add_f64 v[44:45], v[54:55], -v[44:45]
	v_lshl_add_u32 v21, v21, 4, 0
	v_fma_f64 v[52:53], v[52:53], 2.0, -v[48:49]
	v_lshrrev_b16_e32 v25, 12, v17
	v_fma_f64 v[38:39], v[50:51], 2.0, -v[42:43]
	v_fma_f64 v[40:41], v[54:55], 2.0, -v[44:45]
	;; [unrolled: 1-line block ×3, first 2 shown]
	ds_write_b128 v21, v[38:41]
	ds_write_b128 v21, v[50:53] offset:96
	ds_write_b128 v21, v[42:45] offset:192
	;; [unrolled: 1-line block ×3, first 2 shown]
	v_mul_lo_u16_e32 v21, 24, v25
	v_sub_u16_e32 v29, v0, v21
	v_mul_u32_u24_sdwa v21, v29, v18 dst_sel:DWORD dst_unused:UNUSED_PAD src0_sel:BYTE_0 src1_sel:DWORD
	v_lshlrev_b32_e32 v27, 4, v21
	s_waitcnt lgkmcnt(0)
	s_barrier
	global_load_dwordx4 v[21:24], v27, s[12:13] offset:288
	global_load_dwordx4 v[34:37], v27, s[12:13] offset:304
	;; [unrolled: 1-line block ×3, first 2 shown]
	v_mul_lo_u16_e32 v27, 24, v80
	v_sub_u16_e32 v81, v13, v27
	v_mul_lo_u16_e32 v27, 3, v81
	v_lshlrev_b32_e32 v60, 4, v27
	global_load_dwordx4 v[42:45], v60, s[12:13] offset:288
	ds_read_b128 v[46:49], v32
	v_mul_u32_u24_e32 v25, 0x60, v25
	v_or_b32_sdwa v25, v25, v29 dst_sel:DWORD dst_unused:UNUSED_PAD src0_sel:DWORD src1_sel:BYTE_0
	v_lshl_add_u32 v25, v25, 4, 0
	s_waitcnt vmcnt(3) lgkmcnt(0)
	v_mul_f64 v[27:28], v[48:49], v[23:24]
	v_mul_f64 v[23:24], v[46:47], v[23:24]
	v_fma_f64 v[27:28], v[46:47], v[21:22], -v[27:28]
	v_fma_f64 v[46:47], v[48:49], v[21:22], v[23:24]
	ds_read_b128 v[21:24], v30 offset:24576
	s_waitcnt vmcnt(2) lgkmcnt(0)
	v_mul_f64 v[48:49], v[23:24], v[36:37]
	v_mul_f64 v[36:37], v[21:22], v[36:37]
	v_fma_f64 v[48:49], v[21:22], v[34:35], -v[48:49]
	v_fma_f64 v[50:51], v[23:24], v[34:35], v[36:37]
	ds_read_b128 v[21:24], v30 offset:36864
	;; [unrolled: 6-line block ×3, first 2 shown]
	s_waitcnt vmcnt(0) lgkmcnt(0)
	v_mul_f64 v[34:35], v[23:24], v[44:45]
	v_mul_f64 v[36:37], v[21:22], v[44:45]
	v_add_f64 v[76:77], v[27:28], -v[40:41]
	v_add_f64 v[78:79], v[46:47], -v[38:39]
	v_fma_f64 v[52:53], v[21:22], v[42:43], -v[34:35]
	v_fma_f64 v[54:55], v[23:24], v[42:43], v[36:37]
	global_load_dwordx4 v[21:24], v60, s[12:13] offset:304
	ds_read_b128 v[34:37], v30 offset:28672
	s_waitcnt vmcnt(0) lgkmcnt(0)
	v_mul_f64 v[42:43], v[36:37], v[23:24]
	v_mul_f64 v[23:24], v[34:35], v[23:24]
	v_fma_f64 v[56:57], v[34:35], v[21:22], -v[42:43]
	v_fma_f64 v[58:59], v[36:37], v[21:22], v[23:24]
	global_load_dwordx4 v[21:24], v60, s[12:13] offset:320
	ds_read_b128 v[34:37], v30 offset:40960
	s_waitcnt vmcnt(0) lgkmcnt(0)
	v_mul_f64 v[42:43], v[36:37], v[23:24]
	v_mul_f64 v[23:24], v[34:35], v[23:24]
	v_fma_f64 v[60:61], v[34:35], v[21:22], -v[42:43]
	v_fma_f64 v[62:63], v[36:37], v[21:22], v[23:24]
	v_mul_lo_u16_e32 v21, 24, v82
	v_sub_u16_e32 v83, v15, v21
	v_mul_lo_u16_e32 v21, 3, v83
	v_lshlrev_b32_e32 v44, 4, v21
	global_load_dwordx4 v[21:24], v44, s[12:13] offset:288
	ds_read_b128 v[34:37], v30 offset:20480
	s_waitcnt vmcnt(0) lgkmcnt(0)
	v_mul_f64 v[42:43], v[36:37], v[23:24]
	v_mul_f64 v[23:24], v[34:35], v[23:24]
	v_fma_f64 v[64:65], v[34:35], v[21:22], -v[42:43]
	v_fma_f64 v[66:67], v[36:37], v[21:22], v[23:24]
	global_load_dwordx4 v[21:24], v44, s[12:13] offset:304
	ds_read_b128 v[34:37], v30 offset:32768
	s_waitcnt vmcnt(0) lgkmcnt(0)
	v_mul_f64 v[42:43], v[36:37], v[23:24]
	v_mul_f64 v[23:24], v[34:35], v[23:24]
	v_fma_f64 v[68:69], v[34:35], v[21:22], -v[42:43]
	v_fma_f64 v[70:71], v[36:37], v[21:22], v[23:24]
	;; [unrolled: 7-line block ×3, first 2 shown]
	ds_read_b128 v[21:24], v30
	ds_read_b128 v[38:41], v8
	ds_read_b128 v[42:45], v33
	s_waitcnt lgkmcnt(0)
	s_barrier
	v_add_f64 v[48:49], v[21:22], -v[48:49]
	v_add_f64 v[50:51], v[23:24], -v[50:51]
	v_fma_f64 v[34:35], v[21:22], 2.0, -v[48:49]
	v_fma_f64 v[36:37], v[23:24], 2.0, -v[50:51]
	;; [unrolled: 1-line block ×4, first 2 shown]
	v_add_f64 v[27:28], v[38:39], -v[56:57]
	v_add_f64 v[21:22], v[34:35], -v[21:22]
	;; [unrolled: 1-line block ×3, first 2 shown]
	v_fma_f64 v[34:35], v[34:35], 2.0, -v[21:22]
	v_fma_f64 v[36:37], v[36:37], 2.0, -v[23:24]
	ds_write_b128 v25, v[34:37]
	v_add_f64 v[34:35], v[48:49], -v[78:79]
	v_add_f64 v[36:37], v[50:51], v[76:77]
	v_lshrrev_b32_e32 v76, 22, v19
	v_lshrrev_b32_e32 v78, 22, v20
	v_fma_f64 v[46:47], v[48:49], 2.0, -v[34:35]
	v_fma_f64 v[48:49], v[50:51], 2.0, -v[36:37]
	ds_write_b128 v25, v[46:49] offset:384
	ds_write_b128 v25, v[21:24] offset:768
	;; [unrolled: 1-line block ×3, first 2 shown]
	v_add_f64 v[46:47], v[40:41], -v[58:59]
	v_fma_f64 v[34:35], v[38:39], 2.0, -v[27:28]
	v_add_f64 v[38:39], v[52:53], -v[60:61]
	v_mul_lo_u16_e32 v25, 0x60, v80
	v_or_b32_e32 v25, v25, v81
	v_and_b32_e32 v25, 0xffff, v25
	v_lshl_add_u32 v25, v25, 4, 0
	v_add_f64 v[48:49], v[64:65], -v[72:73]
	v_fma_f64 v[36:37], v[40:41], 2.0, -v[46:47]
	v_add_f64 v[40:41], v[54:55], -v[62:63]
	v_fma_f64 v[21:22], v[52:53], 2.0, -v[38:39]
	;; [unrolled: 2-line block ×5, first 2 shown]
	v_fma_f64 v[36:37], v[36:37], 2.0, -v[23:24]
	ds_write_b128 v25, v[34:37]
	v_add_f64 v[34:35], v[27:28], -v[40:41]
	v_add_f64 v[36:37], v[46:47], v[38:39]
	v_fma_f64 v[38:39], v[27:28], 2.0, -v[34:35]
	v_fma_f64 v[40:41], v[46:47], 2.0, -v[36:37]
	v_add_f64 v[27:28], v[42:43], -v[68:69]
	v_add_f64 v[46:47], v[66:67], -v[74:75]
	ds_write_b128 v25, v[38:41] offset:384
	v_fma_f64 v[50:51], v[42:43], 2.0, -v[27:28]
	v_fma_f64 v[42:43], v[64:65], 2.0, -v[48:49]
	;; [unrolled: 1-line block ×3, first 2 shown]
	v_add_f64 v[46:47], v[27:28], -v[46:47]
	v_add_f64 v[48:49], v[52:53], v[48:49]
	ds_write_b128 v25, v[21:24] offset:768
	ds_write_b128 v25, v[34:37] offset:1152
	v_lshrrev_b16_e32 v25, 14, v17
	v_mul_lo_u16_e32 v21, 0x60, v82
	v_mul_lo_u16_e32 v17, 0x60, v25
	v_add_f64 v[42:43], v[50:51], -v[42:43]
	v_add_f64 v[44:45], v[54:55], -v[44:45]
	v_or_b32_e32 v21, v21, v83
	v_fma_f64 v[52:53], v[52:53], 2.0, -v[48:49]
	v_sub_u16_e32 v29, v0, v17
	v_and_b32_e32 v21, 0xffff, v21
	v_mul_u32_u24_sdwa v17, v29, v18 dst_sel:DWORD dst_unused:UNUSED_PAD src0_sel:BYTE_0 src1_sel:DWORD
	v_lshl_add_u32 v21, v21, 4, 0
	v_fma_f64 v[38:39], v[50:51], 2.0, -v[42:43]
	v_fma_f64 v[40:41], v[54:55], 2.0, -v[44:45]
	v_fma_f64 v[50:51], v[27:28], 2.0, -v[46:47]
	v_lshlrev_b32_e32 v17, 4, v17
	ds_write_b128 v21, v[38:41]
	ds_write_b128 v21, v[50:53] offset:384
	ds_write_b128 v21, v[42:45] offset:768
	;; [unrolled: 1-line block ×3, first 2 shown]
	s_waitcnt lgkmcnt(0)
	s_barrier
	global_load_dwordx4 v[21:24], v17, s[12:13] offset:1440
	global_load_dwordx4 v[34:37], v17, s[12:13] offset:1456
	global_load_dwordx4 v[38:41], v17, s[12:13] offset:1472
	v_mul_lo_u16_e32 v17, 0x60, v76
	v_sub_u16_e32 v77, v13, v17
	v_mul_lo_u16_e32 v17, 3, v77
	v_lshlrev_b32_e32 v19, 4, v17
	global_load_dwordx4 v[42:45], v19, s[12:13] offset:1440
	global_load_dwordx4 v[46:49], v19, s[12:13] offset:1456
	ds_read_b128 v[50:53], v32
	v_mul_u32_u24_e32 v25, 0x180, v25
	v_or_b32_sdwa v25, v25, v29 dst_sel:DWORD dst_unused:UNUSED_PAD src0_sel:DWORD src1_sel:BYTE_0
	v_lshl_add_u32 v25, v25, 4, 0
	s_waitcnt vmcnt(4) lgkmcnt(0)
	v_mul_f64 v[17:18], v[52:53], v[23:24]
	v_mul_f64 v[23:24], v[50:51], v[23:24]
	v_fma_f64 v[27:28], v[50:51], v[21:22], -v[17:18]
	v_fma_f64 v[50:51], v[52:53], v[21:22], v[23:24]
	ds_read_b128 v[21:24], v30 offset:24576
	s_waitcnt vmcnt(3) lgkmcnt(0)
	v_mul_f64 v[17:18], v[23:24], v[36:37]
	v_mul_f64 v[36:37], v[21:22], v[36:37]
	v_fma_f64 v[52:53], v[21:22], v[34:35], -v[17:18]
	v_fma_f64 v[54:55], v[23:24], v[34:35], v[36:37]
	ds_read_b128 v[21:24], v30 offset:36864
	;; [unrolled: 6-line block ×4, first 2 shown]
	s_waitcnt vmcnt(0) lgkmcnt(0)
	v_mul_f64 v[17:18], v[23:24], v[48:49]
	v_mul_f64 v[34:35], v[21:22], v[48:49]
	v_fma_f64 v[48:49], v[21:22], v[46:47], -v[17:18]
	v_fma_f64 v[46:47], v[23:24], v[46:47], v[34:35]
	global_load_dwordx4 v[21:24], v19, s[12:13] offset:1472
	ds_read_b128 v[34:37], v30 offset:40960
	s_waitcnt vmcnt(0) lgkmcnt(0)
	v_mul_f64 v[17:18], v[36:37], v[23:24]
	v_fma_f64 v[60:61], v[34:35], v[21:22], -v[17:18]
	v_mul_f64 v[17:18], v[34:35], v[23:24]
	v_fma_f64 v[62:63], v[36:37], v[21:22], v[17:18]
	v_mul_lo_u16_e32 v17, 0x60, v78
	v_sub_u16_e32 v79, v15, v17
	v_mul_lo_u16_e32 v17, 3, v79
	v_lshlrev_b32_e32 v36, 4, v17
	global_load_dwordx4 v[17:20], v36, s[12:13] offset:1440
	ds_read_b128 v[21:24], v30 offset:20480
	s_waitcnt vmcnt(0) lgkmcnt(0)
	v_mul_f64 v[34:35], v[23:24], v[19:20]
	v_mul_f64 v[19:20], v[21:22], v[19:20]
	v_fma_f64 v[64:65], v[21:22], v[17:18], -v[34:35]
	v_fma_f64 v[66:67], v[23:24], v[17:18], v[19:20]
	global_load_dwordx4 v[17:20], v36, s[12:13] offset:1456
	ds_read_b128 v[21:24], v30 offset:32768
	s_waitcnt vmcnt(0) lgkmcnt(0)
	v_mul_f64 v[34:35], v[23:24], v[19:20]
	v_mul_f64 v[19:20], v[21:22], v[19:20]
	v_fma_f64 v[68:69], v[21:22], v[17:18], -v[34:35]
	v_fma_f64 v[70:71], v[23:24], v[17:18], v[19:20]
	;; [unrolled: 7-line block ×3, first 2 shown]
	ds_read_b128 v[17:20], v30
	s_waitcnt lgkmcnt(0)
	v_add_f64 v[42:43], v[17:18], -v[52:53]
	v_add_f64 v[44:45], v[19:20], -v[54:55]
	;; [unrolled: 1-line block ×4, first 2 shown]
	ds_read_b128 v[34:37], v8
	ds_read_b128 v[38:41], v33
	s_waitcnt lgkmcnt(0)
	s_barrier
	v_fma_f64 v[21:22], v[17:18], 2.0, -v[42:43]
	v_fma_f64 v[23:24], v[19:20], 2.0, -v[44:45]
	;; [unrolled: 1-line block ×4, first 2 shown]
	v_add_f64 v[27:28], v[34:35], -v[48:49]
	v_add_f64 v[50:51], v[40:41], -v[70:71]
	v_add_f64 v[48:49], v[64:65], -v[72:73]
	v_add_f64 v[17:18], v[21:22], -v[17:18]
	v_add_f64 v[19:20], v[23:24], -v[19:20]
	v_fma_f64 v[34:35], v[34:35], 2.0, -v[27:28]
	v_fma_f64 v[21:22], v[21:22], 2.0, -v[17:18]
	;; [unrolled: 1-line block ×3, first 2 shown]
	ds_write_b128 v25, v[21:24]
	v_add_f64 v[21:22], v[42:43], -v[54:55]
	v_add_f64 v[23:24], v[44:45], v[52:53]
	v_fma_f64 v[54:55], v[40:41], 2.0, -v[50:51]
	v_fma_f64 v[42:43], v[42:43], 2.0, -v[21:22]
	;; [unrolled: 1-line block ×3, first 2 shown]
	ds_write_b128 v25, v[42:45] offset:1536
	ds_write_b128 v25, v[17:20] offset:3072
	;; [unrolled: 1-line block ×3, first 2 shown]
	v_add_f64 v[21:22], v[58:59], -v[62:63]
	v_add_f64 v[44:45], v[36:37], -v[46:47]
	;; [unrolled: 1-line block ×4, first 2 shown]
	v_mul_lo_u16_e32 v25, 0x180, v76
	v_or_b32_e32 v25, v25, v77
	v_and_b32_e32 v25, 0xffff, v25
	v_lshl_add_u32 v25, v25, 4, 0
	v_fma_f64 v[19:20], v[58:59], 2.0, -v[21:22]
	v_add_f64 v[21:22], v[27:28], -v[21:22]
	v_fma_f64 v[36:37], v[36:37], 2.0, -v[44:45]
	v_fma_f64 v[17:18], v[56:57], 2.0, -v[23:24]
	;; [unrolled: 1-line block ×3, first 2 shown]
	v_add_f64 v[23:24], v[44:45], v[23:24]
	v_fma_f64 v[42:43], v[27:28], 2.0, -v[21:22]
	v_add_f64 v[27:28], v[38:39], -v[68:69]
	v_add_f64 v[17:18], v[34:35], -v[17:18]
	;; [unrolled: 1-line block ×4, first 2 shown]
	v_fma_f64 v[44:45], v[44:45], 2.0, -v[23:24]
	v_fma_f64 v[52:53], v[38:39], 2.0, -v[27:28]
	;; [unrolled: 1-line block ×5, first 2 shown]
	v_add_f64 v[46:47], v[27:28], -v[46:47]
	v_add_f64 v[48:49], v[50:51], v[48:49]
	ds_write_b128 v25, v[34:37]
	ds_write_b128 v25, v[42:45] offset:1536
	v_add_f64 v[38:39], v[52:53], -v[38:39]
	v_fma_f64 v[36:37], v[54:55], 2.0, -v[40:41]
	v_fma_f64 v[42:43], v[27:28], 2.0, -v[46:47]
	;; [unrolled: 1-line block ×3, first 2 shown]
	ds_write_b128 v25, v[17:20] offset:3072
	ds_write_b128 v25, v[21:24] offset:4608
	v_mul_lo_u16_e32 v17, 0x180, v78
	v_or_b32_e32 v17, v17, v79
	v_and_b32_e32 v17, 0xffff, v17
	v_fma_f64 v[34:35], v[52:53], 2.0, -v[38:39]
	v_lshl_add_u32 v17, v17, 4, 0
	ds_write_b128 v17, v[34:37]
	ds_write_b128 v17, v[42:45] offset:1536
	ds_write_b128 v17, v[38:41] offset:3072
	;; [unrolled: 1-line block ×3, first 2 shown]
	v_mul_u32_u24_e32 v17, 3, v0
	v_lshlrev_b32_e32 v17, 4, v17
	v_mov_b32_e32 v27, s13
	v_add_co_u32_e64 v25, s[0:1], s12, v17
	v_addc_co_u32_e64 v68, s[0:1], 0, v27, s[0:1]
	v_add_co_u32_e64 v17, s[0:1], s4, v25
	v_addc_co_u32_e64 v18, s[0:1], 0, v68, s[0:1]
	s_waitcnt lgkmcnt(0)
	s_barrier
	global_load_dwordx4 v[17:20], v[17:18], off offset:1952
	v_add_co_u32_e64 v28, s[0:1], s5, v25
	v_addc_co_u32_e64 v29, s[0:1], 0, v68, s[0:1]
	global_load_dwordx4 v[21:24], v[28:29], off offset:16
	global_load_dwordx4 v[34:37], v[28:29], off offset:32
	s_movk_i32 s0, 0x180
	v_add_u32_e32 v28, 0xffffff80, v0
	v_cmp_gt_u32_e64 s[0:1], s0, v13
	v_cndmask_b32_e64 v76, v28, v13, s[0:1]
	v_mov_b32_e32 v29, 0
	v_mul_i32_i24_e32 v28, 3, v76
	v_lshlrev_b64 v[28:29], 4, v[28:29]
	ds_read_b128 v[46:49], v32
	v_add_co_u32_e64 v42, s[0:1], s12, v28
	v_addc_co_u32_e64 v43, s[0:1], v27, v29, s[0:1]
	v_add_co_u32_e64 v28, s[0:1], s4, v42
	v_addc_co_u32_e64 v29, s[0:1], 0, v43, s[0:1]
	global_load_dwordx4 v[38:41], v[28:29], off offset:1952
	v_add_co_u32_e64 v28, s[0:1], s5, v42
	v_addc_co_u32_e64 v29, s[0:1], 0, v43, s[0:1]
	global_load_dwordx4 v[42:45], v[28:29], off offset:16
	s_movk_i32 s0, 0x2000
	s_movk_i32 s4, 0x5000
	s_waitcnt vmcnt(4) lgkmcnt(0)
	v_mul_f64 v[50:51], v[48:49], v[19:20]
	v_mul_f64 v[19:20], v[46:47], v[19:20]
	v_fma_f64 v[46:47], v[46:47], v[17:18], -v[50:51]
	v_fma_f64 v[48:49], v[48:49], v[17:18], v[19:20]
	ds_read_b128 v[17:20], v30 offset:24576
	s_waitcnt vmcnt(3) lgkmcnt(0)
	v_mul_f64 v[50:51], v[19:20], v[23:24]
	v_mul_f64 v[23:24], v[17:18], v[23:24]
	v_fma_f64 v[50:51], v[17:18], v[21:22], -v[50:51]
	v_fma_f64 v[52:53], v[19:20], v[21:22], v[23:24]
	ds_read_b128 v[17:20], v30 offset:36864
	;; [unrolled: 6-line block ×4, first 2 shown]
	s_waitcnt vmcnt(0) lgkmcnt(0)
	v_mul_f64 v[21:22], v[19:20], v[44:45]
	v_mul_f64 v[23:24], v[17:18], v[44:45]
	v_fma_f64 v[58:59], v[17:18], v[42:43], -v[21:22]
	v_fma_f64 v[60:61], v[19:20], v[42:43], v[23:24]
	global_load_dwordx4 v[17:20], v[28:29], off offset:32
	ds_read_b128 v[21:24], v30 offset:40960
	s_waitcnt vmcnt(0) lgkmcnt(0)
	v_mul_f64 v[28:29], v[23:24], v[19:20]
	v_mul_f64 v[19:20], v[21:22], v[19:20]
	v_fma_f64 v[28:29], v[21:22], v[17:18], -v[28:29]
	v_fma_f64 v[62:63], v[23:24], v[17:18], v[19:20]
	v_add_co_u32_e64 v17, s[0:1], s0, v25
	v_addc_co_u32_e64 v18, s[0:1], 0, v68, s[0:1]
	global_load_dwordx4 v[17:20], v[17:18], off offset:4000
	ds_read_b128 v[21:24], v30 offset:20480
	s_movk_i32 s0, 0x2fa0
	s_waitcnt vmcnt(0) lgkmcnt(0)
	v_mul_f64 v[38:39], v[23:24], v[19:20]
	v_mul_f64 v[19:20], v[21:22], v[19:20]
	v_fma_f64 v[64:65], v[21:22], v[17:18], -v[38:39]
	v_add_co_u32_e64 v38, s[0:1], s0, v25
	v_addc_co_u32_e64 v39, s[0:1], 0, v68, s[0:1]
	v_fma_f64 v[66:67], v[23:24], v[17:18], v[19:20]
	global_load_dwordx4 v[17:20], v[38:39], off offset:16
	ds_read_b128 v[21:24], v30 offset:32768
	s_movk_i32 s0, 0x17f
	v_mov_b32_e32 v25, 0x600
	v_cmp_lt_u32_e64 s[0:1], s0, v13
	v_cndmask_b32_e64 v25, 0, v25, s[0:1]
	v_or_b32_e32 v25, v25, v76
	v_lshl_add_u32 v25, v25, 4, 0
	s_waitcnt vmcnt(0) lgkmcnt(0)
	v_mul_f64 v[40:41], v[23:24], v[19:20]
	v_mul_f64 v[19:20], v[21:22], v[19:20]
	v_fma_f64 v[68:69], v[21:22], v[17:18], -v[40:41]
	v_fma_f64 v[70:71], v[23:24], v[17:18], v[19:20]
	global_load_dwordx4 v[17:20], v[38:39], off offset:32
	ds_read_b128 v[21:24], v30 offset:45056
	s_waitcnt vmcnt(0) lgkmcnt(0)
	v_mul_f64 v[38:39], v[23:24], v[19:20]
	v_mul_f64 v[19:20], v[21:22], v[19:20]
	v_fma_f64 v[72:73], v[21:22], v[17:18], -v[38:39]
	v_fma_f64 v[74:75], v[23:24], v[17:18], v[19:20]
	ds_read_b128 v[17:20], v30
	s_waitcnt lgkmcnt(0)
	v_add_f64 v[42:43], v[17:18], -v[50:51]
	v_add_f64 v[44:45], v[19:20], -v[52:53]
	v_add_f64 v[50:51], v[46:47], -v[36:37]
	v_add_f64 v[52:53], v[48:49], -v[34:35]
	ds_read_b128 v[34:37], v8
	ds_read_b128 v[38:41], v33
	s_waitcnt lgkmcnt(0)
	s_barrier
	v_fma_f64 v[21:22], v[17:18], 2.0, -v[42:43]
	v_fma_f64 v[23:24], v[19:20], 2.0, -v[44:45]
	;; [unrolled: 1-line block ×4, first 2 shown]
	v_add_f64 v[46:47], v[34:35], -v[58:59]
	v_add_f64 v[48:49], v[36:37], -v[60:61]
	;; [unrolled: 1-line block ×4, first 2 shown]
	v_fma_f64 v[21:22], v[21:22], 2.0, -v[17:18]
	v_fma_f64 v[23:24], v[23:24], 2.0, -v[19:20]
	ds_write_b128 v30, v[21:24]
	v_add_f64 v[21:22], v[42:43], -v[52:53]
	v_add_f64 v[23:24], v[44:45], v[50:51]
	v_fma_f64 v[42:43], v[42:43], 2.0, -v[21:22]
	v_fma_f64 v[44:45], v[44:45], 2.0, -v[23:24]
	ds_write_b128 v30, v[42:45] offset:6144
	ds_write_b128 v30, v[17:20] offset:12288
	;; [unrolled: 1-line block ×3, first 2 shown]
	v_add_f64 v[21:22], v[56:57], -v[62:63]
	v_add_f64 v[23:24], v[54:55], -v[28:29]
	;; [unrolled: 1-line block ×3, first 2 shown]
	v_fma_f64 v[42:43], v[34:35], 2.0, -v[46:47]
	v_fma_f64 v[44:45], v[36:37], 2.0, -v[48:49]
	v_fma_f64 v[19:20], v[56:57], 2.0, -v[21:22]
	v_add_f64 v[56:57], v[40:41], -v[70:71]
	v_fma_f64 v[50:51], v[38:39], 2.0, -v[28:29]
	v_add_f64 v[38:39], v[66:67], -v[74:75]
	v_fma_f64 v[17:18], v[54:55], 2.0, -v[23:24]
	v_add_f64 v[21:22], v[46:47], -v[21:22]
	v_add_f64 v[23:24], v[48:49], v[23:24]
	v_add_f64 v[19:20], v[44:45], -v[19:20]
	v_fma_f64 v[52:53], v[40:41], 2.0, -v[56:57]
	v_add_f64 v[40:41], v[64:65], -v[72:73]
	v_fma_f64 v[36:37], v[66:67], 2.0, -v[38:39]
	v_add_f64 v[17:18], v[42:43], -v[17:18]
	v_add_f64 v[38:39], v[28:29], -v[38:39]
	v_fma_f64 v[46:47], v[46:47], 2.0, -v[21:22]
	v_fma_f64 v[48:49], v[48:49], 2.0, -v[23:24]
	;; [unrolled: 1-line block ×4, first 2 shown]
	v_add_f64 v[36:37], v[52:53], -v[36:37]
	v_add_f64 v[40:41], v[56:57], v[40:41]
	v_fma_f64 v[42:43], v[42:43], 2.0, -v[17:18]
	v_fma_f64 v[54:55], v[28:29], 2.0, -v[38:39]
	v_add_f64 v[34:35], v[50:51], -v[34:35]
	v_fma_f64 v[52:53], v[52:53], 2.0, -v[36:37]
	v_fma_f64 v[56:57], v[56:57], 2.0, -v[40:41]
	;; [unrolled: 1-line block ×3, first 2 shown]
	ds_write_b128 v25, v[42:45]
	ds_write_b128 v25, v[46:49] offset:6144
	ds_write_b128 v25, v[17:20] offset:12288
	;; [unrolled: 1-line block ×7, first 2 shown]
	v_lshlrev_b64 v[24:25], 4, v[0:1]
	s_waitcnt lgkmcnt(0)
	v_add_co_u32_e64 v1, s[0:1], s12, v24
	v_addc_co_u32_e64 v18, s[0:1], v27, v25, s[0:1]
	v_add_co_u32_e64 v17, s[0:1], s4, v1
	v_addc_co_u32_e64 v18, s[0:1], 0, v18, s[0:1]
	s_barrier
	global_load_dwordx4 v[34:37], v[17:18], off offset:4000
	v_lshlrev_b64 v[22:23], 4, v[13:14]
	v_lshlrev_b64 v[20:21], 4, v[15:16]
	v_add_co_u32_e64 v1, s[0:1], s12, v22
	v_addc_co_u32_e64 v14, s[0:1], v27, v23, s[0:1]
	v_add_co_u32_e64 v17, s[0:1], s4, v1
	v_addc_co_u32_e64 v18, s[0:1], 0, v14, s[0:1]
	global_load_dwordx4 v[38:41], v[17:18], off offset:4000
	v_add_co_u32_e64 v1, s[0:1], s12, v20
	v_addc_co_u32_e64 v15, s[0:1], v27, v21, s[0:1]
	v_add_co_u32_e64 v14, s[0:1], s4, v1
	v_addc_co_u32_e64 v15, s[0:1], 0, v15, s[0:1]
	global_load_dwordx4 v[42:45], v[14:15], off offset:4000
	v_lshlrev_b64 v[18:19], 4, v[6:7]
	ds_read_b128 v[54:57], v30 offset:24576
	v_add_co_u32_e64 v1, s[0:1], s12, v18
	v_addc_co_u32_e64 v7, s[0:1], v27, v19, s[0:1]
	v_add_co_u32_e64 v6, s[0:1], s4, v1
	v_addc_co_u32_e64 v7, s[0:1], 0, v7, s[0:1]
	global_load_dwordx4 v[46:49], v[6:7], off offset:4000
	v_lshlrev_b64 v[14:15], 4, v[2:3]
	v_add_co_u32_e64 v1, s[0:1], s12, v14
	v_addc_co_u32_e64 v3, s[0:1], v27, v15, s[0:1]
	v_add_co_u32_e64 v6, s[0:1], s4, v1
	v_addc_co_u32_e64 v7, s[0:1], 0, v3, s[0:1]
	global_load_dwordx4 v[50:53], v[6:7], off offset:4000
	s_waitcnt vmcnt(4) lgkmcnt(0)
	v_mul_f64 v[6:7], v[56:57], v[36:37]
	v_mul_f64 v[16:17], v[54:55], v[36:37]
	v_fma_f64 v[6:7], v[54:55], v[34:35], -v[6:7]
	v_fma_f64 v[28:29], v[56:57], v[34:35], v[16:17]
	ds_read_b128 v[34:37], v30 offset:28672
	s_waitcnt vmcnt(3) lgkmcnt(0)
	v_mul_f64 v[16:17], v[36:37], v[40:41]
	v_mul_f64 v[40:41], v[34:35], v[40:41]
	v_fma_f64 v[54:55], v[34:35], v[38:39], -v[16:17]
	v_fma_f64 v[56:57], v[36:37], v[38:39], v[40:41]
	ds_read_b128 v[34:37], v30 offset:32768
	;; [unrolled: 6-line block ×4, first 2 shown]
	s_waitcnt vmcnt(0) lgkmcnt(0)
	v_mul_f64 v[16:17], v[36:37], v[52:53]
	v_mul_f64 v[38:39], v[34:35], v[52:53]
	v_fma_f64 v[74:75], v[34:35], v[50:51], -v[16:17]
	v_lshlrev_b64 v[16:17], 4, v[4:5]
	v_fma_f64 v[76:77], v[36:37], v[50:51], v[38:39]
	v_add_co_u32_e64 v1, s[0:1], s12, v16
	v_addc_co_u32_e64 v3, s[0:1], v27, v17, s[0:1]
	v_add_co_u32_e64 v34, s[0:1], s4, v1
	v_addc_co_u32_e64 v35, s[0:1], 0, v3, s[0:1]
	global_load_dwordx4 v[34:37], v[34:35], off offset:4000
	ds_read_b128 v[38:41], v30 offset:45056
	v_cmp_ne_u32_e64 s[0:1], 0, v0
	s_waitcnt vmcnt(0) lgkmcnt(0)
	v_mul_f64 v[42:43], v[40:41], v[36:37]
	v_mul_f64 v[36:37], v[38:39], v[36:37]
	v_fma_f64 v[78:79], v[38:39], v[34:35], -v[42:43]
	v_fma_f64 v[80:81], v[40:41], v[34:35], v[36:37]
	ds_read_b128 v[34:37], v30
	s_waitcnt lgkmcnt(0)
	v_add_f64 v[38:39], v[34:35], -v[6:7]
	v_add_f64 v[40:41], v[36:37], -v[28:29]
                                        ; implicit-def: $vgpr28_vgpr29
	v_fma_f64 v[42:43], v[34:35], 2.0, -v[38:39]
	v_fma_f64 v[44:45], v[36:37], 2.0, -v[40:41]
	ds_read_b128 v[34:37], v8
	s_waitcnt lgkmcnt(0)
	v_add_f64 v[46:47], v[34:35], -v[54:55]
	v_add_f64 v[48:49], v[36:37], -v[56:57]
	v_fma_f64 v[50:51], v[34:35], 2.0, -v[46:47]
	v_fma_f64 v[52:53], v[36:37], 2.0, -v[48:49]
	v_lshl_add_u32 v34, v4, 4, 0
	v_lshl_add_u32 v35, v2, 4, 0
	ds_read_b128 v[1:4], v32
	ds_read_b128 v[54:57], v34
	;; [unrolled: 1-line block ×4, first 2 shown]
	s_waitcnt lgkmcnt(0)
	s_barrier
	ds_write_b128 v30, v[42:45]
	ds_write_b128 v30, v[38:41] offset:24576
	ds_write_b128 v8, v[50:53]
	ds_write_b128 v8, v[46:49] offset:24576
	v_add_f64 v[5:6], v[58:59], -v[66:67]
	v_add_f64 v[7:8], v[60:61], -v[68:69]
	;; [unrolled: 1-line block ×6, first 2 shown]
	v_fma_f64 v[36:37], v[58:59], 2.0, -v[5:6]
	v_fma_f64 v[38:39], v[60:61], 2.0, -v[7:8]
	v_add_f64 v[58:59], v[54:55], -v[78:79]
	v_add_f64 v[60:61], v[56:57], -v[80:81]
	v_fma_f64 v[1:2], v[1:2], 2.0, -v[40:41]
	v_fma_f64 v[3:4], v[3:4], 2.0, -v[42:43]
	;; [unrolled: 1-line block ×6, first 2 shown]
	ds_write_b128 v33, v[36:39]
	ds_write_b128 v33, v[5:8] offset:24576
	ds_write_b128 v32, v[1:4]
	ds_write_b128 v32, v[40:43] offset:24576
	;; [unrolled: 2-line block ×4, first 2 shown]
	s_waitcnt lgkmcnt(0)
	s_barrier
	ds_read_b128 v[5:8], v30
	v_sub_u32_e32 v36, 0, v26
                                        ; implicit-def: $vgpr26_vgpr27
                                        ; implicit-def: $vgpr1_vgpr2
	s_and_saveexec_b64 s[4:5], s[0:1]
	s_xor_b64 s[4:5], exec, s[4:5]
	s_cbranch_execz .LBB0_15
; %bb.14:
	v_mov_b32_e32 v2, s7
	v_add_co_u32_e64 v1, s[0:1], s6, v24
	v_addc_co_u32_e64 v2, s[0:1], v2, v25, s[0:1]
	global_load_dwordx4 v[24:27], v[1:2], off
	ds_read_b128 v[1:4], v36 offset:49152
	s_waitcnt lgkmcnt(0)
	v_add_f64 v[28:29], v[5:6], -v[1:2]
	v_add_f64 v[37:38], v[7:8], v[3:4]
	v_add_f64 v[3:4], v[7:8], -v[3:4]
	v_add_f64 v[1:2], v[5:6], v[1:2]
	v_mul_f64 v[7:8], v[28:29], 0.5
	v_mul_f64 v[5:6], v[37:38], 0.5
	;; [unrolled: 1-line block ×3, first 2 shown]
	s_waitcnt vmcnt(0)
	v_mul_f64 v[28:29], v[7:8], v[26:27]
	v_fma_f64 v[37:38], v[5:6], v[26:27], v[3:4]
	v_fma_f64 v[3:4], v[5:6], v[26:27], -v[3:4]
	v_fma_f64 v[39:40], v[1:2], 0.5, v[28:29]
	v_fma_f64 v[1:2], v[1:2], 0.5, -v[28:29]
	v_fma_f64 v[28:29], -v[24:25], v[7:8], v[37:38]
	v_fma_f64 v[3:4], -v[24:25], v[7:8], v[3:4]
	v_fma_f64 v[26:27], v[5:6], v[24:25], v[39:40]
	v_fma_f64 v[1:2], -v[5:6], v[24:25], v[1:2]
                                        ; implicit-def: $vgpr5_vgpr6
.LBB0_15:
	s_or_saveexec_b64 s[0:1], s[4:5]
	v_mul_i32_i24_e32 v13, 0xffffffb0, v13
	s_xor_b64 exec, exec, s[0:1]
	s_cbranch_execz .LBB0_17
; %bb.16:
	s_waitcnt lgkmcnt(0)
	v_add_f64 v[26:27], v[5:6], v[7:8]
	v_add_f64 v[1:2], v[5:6], -v[7:8]
	v_mov_b32_e32 v5, 0
	ds_read_b64 v[3:4], v5 offset:24584
	v_mov_b32_e32 v28, 0
	v_mov_b32_e32 v29, 0
	s_waitcnt lgkmcnt(0)
	v_xor_b32_e32 v4, 0x80000000, v4
	ds_write_b64 v5, v[3:4] offset:24584
	v_mov_b32_e32 v3, v28
	v_mov_b32_e32 v4, v29
.LBB0_17:
	s_or_b64 exec, exec, s[0:1]
	s_waitcnt lgkmcnt(0)
	v_mov_b32_e32 v6, s7
	v_add_co_u32_e64 v5, s[0:1], s6, v22
	v_addc_co_u32_e64 v6, s[0:1], v6, v23, s[0:1]
	global_load_dwordx4 v[5:8], v[5:6], off
	v_mov_b32_e32 v22, s7
	v_add_co_u32_e64 v20, s[0:1], s6, v20
	v_addc_co_u32_e64 v21, s[0:1], v22, v21, s[0:1]
	global_load_dwordx4 v[20:23], v[20:21], off
	ds_write2_b64 v30, v[26:27], v[28:29] offset1:1
	ds_write_b128 v36, v[1:4] offset:49152
	v_add_u32_e32 v13, v31, v13
	ds_read_b128 v[1:4], v13
	ds_read_b128 v[24:27], v36 offset:45056
	v_mov_b32_e32 v39, s7
	s_waitcnt lgkmcnt(0)
	v_add_f64 v[28:29], v[1:2], -v[24:25]
	v_add_f64 v[30:31], v[3:4], v[26:27]
	v_add_f64 v[3:4], v[3:4], -v[26:27]
	v_add_f64 v[1:2], v[1:2], v[24:25]
	v_mul_f64 v[26:27], v[28:29], 0.5
	v_mul_f64 v[28:29], v[30:31], 0.5
	;; [unrolled: 1-line block ×3, first 2 shown]
	s_waitcnt vmcnt(1)
	v_mul_f64 v[24:25], v[26:27], v[7:8]
	v_fma_f64 v[30:31], v[28:29], v[7:8], v[3:4]
	v_fma_f64 v[7:8], v[28:29], v[7:8], -v[3:4]
	v_fma_f64 v[37:38], v[1:2], 0.5, v[24:25]
	v_fma_f64 v[24:25], v[1:2], 0.5, -v[24:25]
	v_add_co_u32_e64 v1, s[0:1], s6, v18
	v_addc_co_u32_e64 v2, s[0:1], v39, v19, s[0:1]
	global_load_dwordx4 v[1:4], v[1:2], off
	v_fma_f64 v[18:19], -v[5:6], v[26:27], v[30:31]
	v_fma_f64 v[7:8], -v[5:6], v[26:27], v[7:8]
	v_fma_f64 v[26:27], v[28:29], v[5:6], v[37:38]
	v_fma_f64 v[5:6], -v[28:29], v[5:6], v[24:25]
	ds_write_b64 v13, v[18:19] offset:8
	ds_write_b64 v36, v[7:8] offset:45064
	ds_write_b64 v13, v[26:27]
	ds_write_b64 v36, v[5:6] offset:45056
	ds_read_b128 v[5:8], v33
	ds_read_b128 v[24:27], v36 offset:40960
	v_mov_b32_e32 v13, s7
	s_waitcnt lgkmcnt(0)
	v_add_f64 v[18:19], v[5:6], -v[24:25]
	v_add_f64 v[28:29], v[7:8], v[26:27]
	v_add_f64 v[7:8], v[7:8], -v[26:27]
	v_add_f64 v[5:6], v[5:6], v[24:25]
	v_mul_f64 v[18:19], v[18:19], 0.5
	v_mul_f64 v[26:27], v[28:29], 0.5
	;; [unrolled: 1-line block ×3, first 2 shown]
	s_waitcnt vmcnt(1)
	v_mul_f64 v[24:25], v[18:19], v[22:23]
	v_fma_f64 v[28:29], v[26:27], v[22:23], v[7:8]
	v_fma_f64 v[22:23], v[26:27], v[22:23], -v[7:8]
	v_fma_f64 v[30:31], v[5:6], 0.5, v[24:25]
	v_fma_f64 v[24:25], v[5:6], 0.5, -v[24:25]
	v_add_co_u32_e64 v5, s[0:1], s6, v14
	v_addc_co_u32_e64 v6, s[0:1], v13, v15, s[0:1]
	global_load_dwordx4 v[5:8], v[5:6], off
	v_fma_f64 v[13:14], -v[20:21], v[18:19], v[28:29]
	v_fma_f64 v[22:23], -v[20:21], v[18:19], v[22:23]
	v_fma_f64 v[18:19], v[26:27], v[20:21], v[30:31]
	v_fma_f64 v[20:21], -v[26:27], v[20:21], v[24:25]
	v_mov_b32_e32 v15, s7
	ds_write2_b64 v33, v[18:19], v[13:14] offset1:1
	ds_write_b128 v36, v[20:23] offset:40960
	ds_read_b128 v[18:21], v32
	ds_read_b128 v[22:25], v36 offset:36864
	s_waitcnt lgkmcnt(0)
	v_add_f64 v[13:14], v[18:19], -v[22:23]
	v_add_f64 v[26:27], v[20:21], v[24:25]
	v_add_f64 v[20:21], v[20:21], -v[24:25]
	v_add_f64 v[18:19], v[18:19], v[22:23]
	v_mul_f64 v[24:25], v[13:14], 0.5
	v_mul_f64 v[26:27], v[26:27], 0.5
	;; [unrolled: 1-line block ×3, first 2 shown]
	s_waitcnt vmcnt(1)
	v_mul_f64 v[20:21], v[24:25], v[3:4]
	v_fma_f64 v[22:23], v[26:27], v[3:4], v[13:14]
	v_fma_f64 v[3:4], v[26:27], v[3:4], -v[13:14]
	v_add_co_u32_e64 v13, s[0:1], s6, v16
	v_addc_co_u32_e64 v14, s[0:1], v15, v17, s[0:1]
	global_load_dwordx4 v[13:16], v[13:14], off
	v_fma_f64 v[28:29], v[18:19], 0.5, v[20:21]
	v_fma_f64 v[18:19], v[18:19], 0.5, -v[20:21]
	v_fma_f64 v[20:21], -v[1:2], v[24:25], v[22:23]
	v_fma_f64 v[3:4], -v[1:2], v[24:25], v[3:4]
	v_fma_f64 v[22:23], v[26:27], v[1:2], v[28:29]
	v_fma_f64 v[1:2], -v[26:27], v[1:2], v[18:19]
	ds_write2_b64 v32, v[22:23], v[20:21] offset1:1
	ds_write_b128 v36, v[1:4] offset:36864
	ds_read_b128 v[1:4], v35
	ds_read_b128 v[17:20], v36 offset:32768
	s_waitcnt lgkmcnt(0)
	v_add_f64 v[21:22], v[1:2], -v[17:18]
	v_add_f64 v[23:24], v[3:4], v[19:20]
	v_add_f64 v[3:4], v[3:4], -v[19:20]
	v_add_f64 v[1:2], v[1:2], v[17:18]
	v_mul_f64 v[19:20], v[21:22], 0.5
	v_mul_f64 v[21:22], v[23:24], 0.5
	v_mul_f64 v[3:4], v[3:4], 0.5
	s_waitcnt vmcnt(1)
	v_mul_f64 v[17:18], v[19:20], v[7:8]
	v_fma_f64 v[23:24], v[21:22], v[7:8], v[3:4]
	v_fma_f64 v[3:4], v[21:22], v[7:8], -v[3:4]
	v_fma_f64 v[7:8], v[1:2], 0.5, v[17:18]
	v_fma_f64 v[1:2], v[1:2], 0.5, -v[17:18]
	v_fma_f64 v[17:18], -v[5:6], v[19:20], v[23:24]
	v_fma_f64 v[3:4], -v[5:6], v[19:20], v[3:4]
	v_fma_f64 v[7:8], v[21:22], v[5:6], v[7:8]
	v_fma_f64 v[1:2], -v[21:22], v[5:6], v[1:2]
	ds_write2_b64 v35, v[7:8], v[17:18] offset1:1
	ds_write_b128 v36, v[1:4] offset:32768
	ds_read_b128 v[1:4], v34
	ds_read_b128 v[5:8], v36 offset:28672
	s_waitcnt lgkmcnt(0)
	v_add_f64 v[17:18], v[1:2], -v[5:6]
	v_add_f64 v[19:20], v[3:4], v[7:8]
	v_add_f64 v[3:4], v[3:4], -v[7:8]
	v_add_f64 v[1:2], v[1:2], v[5:6]
	v_mul_f64 v[7:8], v[17:18], 0.5
	v_mul_f64 v[17:18], v[19:20], 0.5
	;; [unrolled: 1-line block ×3, first 2 shown]
	s_waitcnt vmcnt(0)
	v_mul_f64 v[5:6], v[7:8], v[15:16]
	v_fma_f64 v[19:20], v[17:18], v[15:16], v[3:4]
	v_fma_f64 v[3:4], v[17:18], v[15:16], -v[3:4]
	v_fma_f64 v[15:16], v[1:2], 0.5, v[5:6]
	v_fma_f64 v[1:2], v[1:2], 0.5, -v[5:6]
	v_fma_f64 v[5:6], -v[13:14], v[7:8], v[19:20]
	v_fma_f64 v[3:4], -v[13:14], v[7:8], v[3:4]
	v_fma_f64 v[7:8], v[17:18], v[13:14], v[15:16]
	v_fma_f64 v[1:2], -v[17:18], v[13:14], v[1:2]
	ds_write2_b64 v34, v[7:8], v[5:6] offset1:1
	ds_write_b128 v36, v[1:4] offset:28672
	s_waitcnt lgkmcnt(0)
	s_barrier
	s_and_saveexec_b64 s[0:1], vcc
	s_cbranch_execz .LBB0_20
; %bb.18:
	v_mul_lo_u32 v1, s3, v11
	v_mul_lo_u32 v4, s2, v12
	v_mad_u64_u32 v[2:3], s[0:1], s2, v11, 0
	v_mov_b32_e32 v8, s11
	v_lshl_add_u32 v14, v0, 4, 0
	v_add3_u32 v3, v3, v4, v1
	v_lshlrev_b64 v[2:3], 4, v[2:3]
	v_mov_b32_e32 v1, 0
	v_add_co_u32_e32 v2, vcc, s10, v2
	v_addc_co_u32_e32 v11, vcc, v8, v3, vcc
	v_lshlrev_b64 v[8:9], 4, v[9:10]
	ds_read_b128 v[4:7], v14
	v_add_co_u32_e32 v3, vcc, v2, v8
	v_addc_co_u32_e32 v2, vcc, v11, v9, vcc
	v_lshlrev_b64 v[8:9], 4, v[0:1]
	s_movk_i32 s0, 0xff
	v_add_co_u32_e32 v12, vcc, v3, v8
	v_addc_co_u32_e32 v13, vcc, v2, v9, vcc
	ds_read_b128 v[8:11], v14 offset:4096
	s_waitcnt lgkmcnt(1)
	global_store_dwordx4 v[12:13], v[4:7], off
	s_nop 0
	v_add_u32_e32 v4, 0x100, v0
	v_mov_b32_e32 v5, v1
	v_lshlrev_b64 v[4:5], 4, v[4:5]
	v_add_co_u32_e32 v4, vcc, v3, v4
	v_addc_co_u32_e32 v5, vcc, v2, v5, vcc
	s_waitcnt lgkmcnt(0)
	global_store_dwordx4 v[4:5], v[8:11], off
	ds_read_b128 v[4:7], v14 offset:8192
	v_add_u32_e32 v8, 0x200, v0
	v_mov_b32_e32 v9, v1
	v_lshlrev_b64 v[8:9], 4, v[8:9]
	v_add_co_u32_e32 v12, vcc, v3, v8
	v_addc_co_u32_e32 v13, vcc, v2, v9, vcc
	ds_read_b128 v[8:11], v14 offset:12288
	s_waitcnt lgkmcnt(1)
	global_store_dwordx4 v[12:13], v[4:7], off
	s_nop 0
	v_add_u32_e32 v4, 0x300, v0
	v_mov_b32_e32 v5, v1
	v_lshlrev_b64 v[4:5], 4, v[4:5]
	v_add_co_u32_e32 v4, vcc, v3, v4
	v_addc_co_u32_e32 v5, vcc, v2, v5, vcc
	s_waitcnt lgkmcnt(0)
	global_store_dwordx4 v[4:5], v[8:11], off
	ds_read_b128 v[4:7], v14 offset:16384
	v_add_u32_e32 v8, 0x400, v0
	v_mov_b32_e32 v9, v1
	v_lshlrev_b64 v[8:9], 4, v[8:9]
	v_add_co_u32_e32 v12, vcc, v3, v8
	v_addc_co_u32_e32 v13, vcc, v2, v9, vcc
	ds_read_b128 v[8:11], v14 offset:20480
	s_waitcnt lgkmcnt(1)
	global_store_dwordx4 v[12:13], v[4:7], off
	s_nop 0
	v_add_u32_e32 v4, 0x500, v0
	v_mov_b32_e32 v5, v1
	v_lshlrev_b64 v[4:5], 4, v[4:5]
	v_add_co_u32_e32 v4, vcc, v3, v4
	v_addc_co_u32_e32 v5, vcc, v2, v5, vcc
	s_waitcnt lgkmcnt(0)
	global_store_dwordx4 v[4:5], v[8:11], off
	ds_read_b128 v[4:7], v14 offset:24576
	v_add_u32_e32 v8, 0x600, v0
	v_mov_b32_e32 v9, v1
	v_lshlrev_b64 v[8:9], 4, v[8:9]
	v_add_co_u32_e32 v12, vcc, v3, v8
	v_addc_co_u32_e32 v13, vcc, v2, v9, vcc
	ds_read_b128 v[8:11], v14 offset:28672
	s_waitcnt lgkmcnt(1)
	global_store_dwordx4 v[12:13], v[4:7], off
	s_nop 0
	v_add_u32_e32 v4, 0x700, v0
	v_mov_b32_e32 v5, v1
	v_lshlrev_b64 v[4:5], 4, v[4:5]
	v_add_co_u32_e32 v4, vcc, v3, v4
	v_addc_co_u32_e32 v5, vcc, v2, v5, vcc
	s_waitcnt lgkmcnt(0)
	global_store_dwordx4 v[4:5], v[8:11], off
	ds_read_b128 v[4:7], v14 offset:32768
	v_add_u32_e32 v8, 0x800, v0
	v_mov_b32_e32 v9, v1
	v_lshlrev_b64 v[8:9], 4, v[8:9]
	v_add_co_u32_e32 v12, vcc, v3, v8
	v_addc_co_u32_e32 v13, vcc, v2, v9, vcc
	ds_read_b128 v[8:11], v14 offset:36864
	s_waitcnt lgkmcnt(1)
	global_store_dwordx4 v[12:13], v[4:7], off
	s_nop 0
	v_add_u32_e32 v4, 0x900, v0
	v_mov_b32_e32 v5, v1
	v_lshlrev_b64 v[4:5], 4, v[4:5]
	v_add_co_u32_e32 v4, vcc, v3, v4
	v_addc_co_u32_e32 v5, vcc, v2, v5, vcc
	s_waitcnt lgkmcnt(0)
	global_store_dwordx4 v[4:5], v[8:11], off
	ds_read_b128 v[4:7], v14 offset:40960
	v_add_u32_e32 v8, 0xa00, v0
	v_mov_b32_e32 v9, v1
	v_lshlrev_b64 v[8:9], 4, v[8:9]
	v_add_co_u32_e32 v12, vcc, v3, v8
	v_addc_co_u32_e32 v13, vcc, v2, v9, vcc
	ds_read_b128 v[8:11], v14 offset:45056
	s_waitcnt lgkmcnt(1)
	global_store_dwordx4 v[12:13], v[4:7], off
	s_nop 0
	v_add_u32_e32 v4, 0xb00, v0
	v_mov_b32_e32 v5, v1
	v_lshlrev_b64 v[4:5], 4, v[4:5]
	v_add_co_u32_e32 v4, vcc, v3, v4
	v_addc_co_u32_e32 v5, vcc, v2, v5, vcc
	v_cmp_eq_u32_e32 vcc, s0, v0
	s_waitcnt lgkmcnt(0)
	global_store_dwordx4 v[4:5], v[8:11], off
	s_and_b64 exec, exec, vcc
	s_cbranch_execz .LBB0_20
; %bb.19:
	ds_read_b128 v[4:7], v1 offset:49152
	v_add_co_u32_e32 v0, vcc, 0xc000, v3
	v_addc_co_u32_e32 v1, vcc, 0, v2, vcc
	s_waitcnt lgkmcnt(0)
	global_store_dwordx4 v[0:1], v[4:7], off
.LBB0_20:
	s_endpgm
	.section	.rodata,"a",@progbits
	.p2align	6, 0x0
	.amdhsa_kernel fft_rtc_fwd_len3072_factors_6_4_4_4_4_2_wgs_256_tpt_256_halfLds_dp_op_CI_CI_unitstride_sbrr_R2C_dirReg
		.amdhsa_group_segment_fixed_size 0
		.amdhsa_private_segment_fixed_size 0
		.amdhsa_kernarg_size 104
		.amdhsa_user_sgpr_count 6
		.amdhsa_user_sgpr_private_segment_buffer 1
		.amdhsa_user_sgpr_dispatch_ptr 0
		.amdhsa_user_sgpr_queue_ptr 0
		.amdhsa_user_sgpr_kernarg_segment_ptr 1
		.amdhsa_user_sgpr_dispatch_id 0
		.amdhsa_user_sgpr_flat_scratch_init 0
		.amdhsa_user_sgpr_private_segment_size 0
		.amdhsa_uses_dynamic_stack 0
		.amdhsa_system_sgpr_private_segment_wavefront_offset 0
		.amdhsa_system_sgpr_workgroup_id_x 1
		.amdhsa_system_sgpr_workgroup_id_y 0
		.amdhsa_system_sgpr_workgroup_id_z 0
		.amdhsa_system_sgpr_workgroup_info 0
		.amdhsa_system_vgpr_workitem_id 0
		.amdhsa_next_free_vgpr 84
		.amdhsa_next_free_sgpr 28
		.amdhsa_reserve_vcc 1
		.amdhsa_reserve_flat_scratch 0
		.amdhsa_float_round_mode_32 0
		.amdhsa_float_round_mode_16_64 0
		.amdhsa_float_denorm_mode_32 3
		.amdhsa_float_denorm_mode_16_64 3
		.amdhsa_dx10_clamp 1
		.amdhsa_ieee_mode 1
		.amdhsa_fp16_overflow 0
		.amdhsa_exception_fp_ieee_invalid_op 0
		.amdhsa_exception_fp_denorm_src 0
		.amdhsa_exception_fp_ieee_div_zero 0
		.amdhsa_exception_fp_ieee_overflow 0
		.amdhsa_exception_fp_ieee_underflow 0
		.amdhsa_exception_fp_ieee_inexact 0
		.amdhsa_exception_int_div_zero 0
	.end_amdhsa_kernel
	.text
.Lfunc_end0:
	.size	fft_rtc_fwd_len3072_factors_6_4_4_4_4_2_wgs_256_tpt_256_halfLds_dp_op_CI_CI_unitstride_sbrr_R2C_dirReg, .Lfunc_end0-fft_rtc_fwd_len3072_factors_6_4_4_4_4_2_wgs_256_tpt_256_halfLds_dp_op_CI_CI_unitstride_sbrr_R2C_dirReg
                                        ; -- End function
	.section	.AMDGPU.csdata,"",@progbits
; Kernel info:
; codeLenInByte = 10624
; NumSgprs: 32
; NumVgprs: 84
; ScratchSize: 0
; MemoryBound: 0
; FloatMode: 240
; IeeeMode: 1
; LDSByteSize: 0 bytes/workgroup (compile time only)
; SGPRBlocks: 3
; VGPRBlocks: 20
; NumSGPRsForWavesPerEU: 32
; NumVGPRsForWavesPerEU: 84
; Occupancy: 3
; WaveLimiterHint : 1
; COMPUTE_PGM_RSRC2:SCRATCH_EN: 0
; COMPUTE_PGM_RSRC2:USER_SGPR: 6
; COMPUTE_PGM_RSRC2:TRAP_HANDLER: 0
; COMPUTE_PGM_RSRC2:TGID_X_EN: 1
; COMPUTE_PGM_RSRC2:TGID_Y_EN: 0
; COMPUTE_PGM_RSRC2:TGID_Z_EN: 0
; COMPUTE_PGM_RSRC2:TIDIG_COMP_CNT: 0
	.type	__hip_cuid_e989dddd37b4979e,@object ; @__hip_cuid_e989dddd37b4979e
	.section	.bss,"aw",@nobits
	.globl	__hip_cuid_e989dddd37b4979e
__hip_cuid_e989dddd37b4979e:
	.byte	0                               ; 0x0
	.size	__hip_cuid_e989dddd37b4979e, 1

	.ident	"AMD clang version 19.0.0git (https://github.com/RadeonOpenCompute/llvm-project roc-6.4.0 25133 c7fe45cf4b819c5991fe208aaa96edf142730f1d)"
	.section	".note.GNU-stack","",@progbits
	.addrsig
	.addrsig_sym __hip_cuid_e989dddd37b4979e
	.amdgpu_metadata
---
amdhsa.kernels:
  - .args:
      - .actual_access:  read_only
        .address_space:  global
        .offset:         0
        .size:           8
        .value_kind:     global_buffer
      - .offset:         8
        .size:           8
        .value_kind:     by_value
      - .actual_access:  read_only
        .address_space:  global
        .offset:         16
        .size:           8
        .value_kind:     global_buffer
      - .actual_access:  read_only
        .address_space:  global
        .offset:         24
        .size:           8
        .value_kind:     global_buffer
      - .actual_access:  read_only
        .address_space:  global
        .offset:         32
        .size:           8
        .value_kind:     global_buffer
      - .offset:         40
        .size:           8
        .value_kind:     by_value
      - .actual_access:  read_only
        .address_space:  global
        .offset:         48
        .size:           8
        .value_kind:     global_buffer
      - .actual_access:  read_only
        .address_space:  global
        .offset:         56
        .size:           8
        .value_kind:     global_buffer
      - .offset:         64
        .size:           4
        .value_kind:     by_value
      - .actual_access:  read_only
        .address_space:  global
        .offset:         72
        .size:           8
        .value_kind:     global_buffer
      - .actual_access:  read_only
        .address_space:  global
        .offset:         80
        .size:           8
        .value_kind:     global_buffer
      - .actual_access:  read_only
        .address_space:  global
        .offset:         88
        .size:           8
        .value_kind:     global_buffer
      - .actual_access:  write_only
        .address_space:  global
        .offset:         96
        .size:           8
        .value_kind:     global_buffer
    .group_segment_fixed_size: 0
    .kernarg_segment_align: 8
    .kernarg_segment_size: 104
    .language:       OpenCL C
    .language_version:
      - 2
      - 0
    .max_flat_workgroup_size: 256
    .name:           fft_rtc_fwd_len3072_factors_6_4_4_4_4_2_wgs_256_tpt_256_halfLds_dp_op_CI_CI_unitstride_sbrr_R2C_dirReg
    .private_segment_fixed_size: 0
    .sgpr_count:     32
    .sgpr_spill_count: 0
    .symbol:         fft_rtc_fwd_len3072_factors_6_4_4_4_4_2_wgs_256_tpt_256_halfLds_dp_op_CI_CI_unitstride_sbrr_R2C_dirReg.kd
    .uniform_work_group_size: 1
    .uses_dynamic_stack: false
    .vgpr_count:     84
    .vgpr_spill_count: 0
    .wavefront_size: 64
amdhsa.target:   amdgcn-amd-amdhsa--gfx906
amdhsa.version:
  - 1
  - 2
...

	.end_amdgpu_metadata
